;; amdgpu-corpus repo=ROCm/rocFFT kind=compiled arch=gfx906 opt=O3
	.text
	.amdgcn_target "amdgcn-amd-amdhsa--gfx906"
	.amdhsa_code_object_version 6
	.protected	fft_rtc_back_len500_factors_10_5_10_wgs_100_tpt_100_halfLds_dp_op_CI_CI_sbrr_dirReg ; -- Begin function fft_rtc_back_len500_factors_10_5_10_wgs_100_tpt_100_halfLds_dp_op_CI_CI_sbrr_dirReg
	.globl	fft_rtc_back_len500_factors_10_5_10_wgs_100_tpt_100_halfLds_dp_op_CI_CI_sbrr_dirReg
	.p2align	8
	.type	fft_rtc_back_len500_factors_10_5_10_wgs_100_tpt_100_halfLds_dp_op_CI_CI_sbrr_dirReg,@function
fft_rtc_back_len500_factors_10_5_10_wgs_100_tpt_100_halfLds_dp_op_CI_CI_sbrr_dirReg: ; @fft_rtc_back_len500_factors_10_5_10_wgs_100_tpt_100_halfLds_dp_op_CI_CI_sbrr_dirReg
; %bb.0:
	s_load_dwordx4 s[16:19], s[4:5], 0x18
	s_load_dwordx4 s[12:15], s[4:5], 0x0
	;; [unrolled: 1-line block ×3, first 2 shown]
	v_mul_u32_u24_e32 v1, 0x290, v0
	v_add_u32_sdwa v5, s6, v1 dst_sel:DWORD dst_unused:UNUSED_PAD src0_sel:DWORD src1_sel:WORD_1
	s_waitcnt lgkmcnt(0)
	s_load_dwordx2 s[20:21], s[16:17], 0x0
	s_load_dwordx2 s[2:3], s[18:19], 0x0
	v_cmp_lt_u64_e64 s[0:1], s[14:15], 2
	v_mov_b32_e32 v3, 0
	v_mov_b32_e32 v1, 0
	;; [unrolled: 1-line block ×3, first 2 shown]
	s_and_b64 vcc, exec, s[0:1]
	v_mov_b32_e32 v2, 0
	s_cbranch_vccnz .LBB0_8
; %bb.1:
	s_load_dwordx2 s[0:1], s[4:5], 0x10
	s_add_u32 s6, s18, 8
	s_addc_u32 s7, s19, 0
	s_add_u32 s22, s16, 8
	v_mov_b32_e32 v1, 0
	s_addc_u32 s23, s17, 0
	v_mov_b32_e32 v2, 0
	s_waitcnt lgkmcnt(0)
	s_add_u32 s24, s0, 8
	v_mov_b32_e32 v51, v2
	s_addc_u32 s25, s1, 0
	s_mov_b64 s[26:27], 1
	v_mov_b32_e32 v50, v1
.LBB0_2:                                ; =>This Inner Loop Header: Depth=1
	s_load_dwordx2 s[28:29], s[24:25], 0x0
                                        ; implicit-def: $vgpr52_vgpr53
	s_waitcnt lgkmcnt(0)
	v_or_b32_e32 v4, s29, v6
	v_cmp_ne_u64_e32 vcc, 0, v[3:4]
	s_and_saveexec_b64 s[0:1], vcc
	s_xor_b64 s[30:31], exec, s[0:1]
	s_cbranch_execz .LBB0_4
; %bb.3:                                ;   in Loop: Header=BB0_2 Depth=1
	v_cvt_f32_u32_e32 v4, s28
	v_cvt_f32_u32_e32 v7, s29
	s_sub_u32 s0, 0, s28
	s_subb_u32 s1, 0, s29
	v_mac_f32_e32 v4, 0x4f800000, v7
	v_rcp_f32_e32 v4, v4
	v_mul_f32_e32 v4, 0x5f7ffffc, v4
	v_mul_f32_e32 v7, 0x2f800000, v4
	v_trunc_f32_e32 v7, v7
	v_mac_f32_e32 v4, 0xcf800000, v7
	v_cvt_u32_f32_e32 v7, v7
	v_cvt_u32_f32_e32 v4, v4
	v_mul_lo_u32 v8, s0, v7
	v_mul_hi_u32 v9, s0, v4
	v_mul_lo_u32 v11, s1, v4
	v_mul_lo_u32 v10, s0, v4
	v_add_u32_e32 v8, v9, v8
	v_add_u32_e32 v8, v8, v11
	v_mul_hi_u32 v9, v4, v10
	v_mul_lo_u32 v11, v4, v8
	v_mul_hi_u32 v13, v4, v8
	v_mul_hi_u32 v12, v7, v10
	v_mul_lo_u32 v10, v7, v10
	v_mul_hi_u32 v14, v7, v8
	v_add_co_u32_e32 v9, vcc, v9, v11
	v_addc_co_u32_e32 v11, vcc, 0, v13, vcc
	v_mul_lo_u32 v8, v7, v8
	v_add_co_u32_e32 v9, vcc, v9, v10
	v_addc_co_u32_e32 v9, vcc, v11, v12, vcc
	v_addc_co_u32_e32 v10, vcc, 0, v14, vcc
	v_add_co_u32_e32 v8, vcc, v9, v8
	v_addc_co_u32_e32 v9, vcc, 0, v10, vcc
	v_add_co_u32_e32 v4, vcc, v4, v8
	v_addc_co_u32_e32 v7, vcc, v7, v9, vcc
	v_mul_lo_u32 v8, s0, v7
	v_mul_hi_u32 v9, s0, v4
	v_mul_lo_u32 v10, s1, v4
	v_mul_lo_u32 v11, s0, v4
	v_add_u32_e32 v8, v9, v8
	v_add_u32_e32 v8, v8, v10
	v_mul_lo_u32 v12, v4, v8
	v_mul_hi_u32 v13, v4, v11
	v_mul_hi_u32 v14, v4, v8
	;; [unrolled: 1-line block ×3, first 2 shown]
	v_mul_lo_u32 v11, v7, v11
	v_mul_hi_u32 v9, v7, v8
	v_add_co_u32_e32 v12, vcc, v13, v12
	v_addc_co_u32_e32 v13, vcc, 0, v14, vcc
	v_mul_lo_u32 v8, v7, v8
	v_add_co_u32_e32 v11, vcc, v12, v11
	v_addc_co_u32_e32 v10, vcc, v13, v10, vcc
	v_addc_co_u32_e32 v9, vcc, 0, v9, vcc
	v_add_co_u32_e32 v8, vcc, v10, v8
	v_addc_co_u32_e32 v9, vcc, 0, v9, vcc
	v_add_co_u32_e32 v4, vcc, v4, v8
	v_addc_co_u32_e32 v9, vcc, v7, v9, vcc
	v_mad_u64_u32 v[7:8], s[0:1], v5, v9, 0
	v_mul_hi_u32 v10, v5, v4
	v_add_co_u32_e32 v11, vcc, v10, v7
	v_addc_co_u32_e32 v12, vcc, 0, v8, vcc
	v_mad_u64_u32 v[7:8], s[0:1], v6, v4, 0
	v_mad_u64_u32 v[9:10], s[0:1], v6, v9, 0
	v_add_co_u32_e32 v4, vcc, v11, v7
	v_addc_co_u32_e32 v4, vcc, v12, v8, vcc
	v_addc_co_u32_e32 v7, vcc, 0, v10, vcc
	v_add_co_u32_e32 v4, vcc, v4, v9
	v_addc_co_u32_e32 v9, vcc, 0, v7, vcc
	v_mul_lo_u32 v10, s29, v4
	v_mul_lo_u32 v11, s28, v9
	v_mad_u64_u32 v[7:8], s[0:1], s28, v4, 0
	v_add3_u32 v8, v8, v11, v10
	v_sub_u32_e32 v10, v6, v8
	v_mov_b32_e32 v11, s29
	v_sub_co_u32_e32 v7, vcc, v5, v7
	v_subb_co_u32_e64 v10, s[0:1], v10, v11, vcc
	v_subrev_co_u32_e64 v11, s[0:1], s28, v7
	v_subbrev_co_u32_e64 v10, s[0:1], 0, v10, s[0:1]
	v_cmp_le_u32_e64 s[0:1], s29, v10
	v_cndmask_b32_e64 v12, 0, -1, s[0:1]
	v_cmp_le_u32_e64 s[0:1], s28, v11
	v_cndmask_b32_e64 v11, 0, -1, s[0:1]
	v_cmp_eq_u32_e64 s[0:1], s29, v10
	v_cndmask_b32_e64 v10, v12, v11, s[0:1]
	v_add_co_u32_e64 v11, s[0:1], 2, v4
	v_addc_co_u32_e64 v12, s[0:1], 0, v9, s[0:1]
	v_add_co_u32_e64 v13, s[0:1], 1, v4
	v_addc_co_u32_e64 v14, s[0:1], 0, v9, s[0:1]
	v_subb_co_u32_e32 v8, vcc, v6, v8, vcc
	v_cmp_ne_u32_e64 s[0:1], 0, v10
	v_cmp_le_u32_e32 vcc, s29, v8
	v_cndmask_b32_e64 v10, v14, v12, s[0:1]
	v_cndmask_b32_e64 v12, 0, -1, vcc
	v_cmp_le_u32_e32 vcc, s28, v7
	v_cndmask_b32_e64 v7, 0, -1, vcc
	v_cmp_eq_u32_e32 vcc, s29, v8
	v_cndmask_b32_e32 v7, v12, v7, vcc
	v_cmp_ne_u32_e32 vcc, 0, v7
	v_cndmask_b32_e64 v7, v13, v11, s[0:1]
	v_cndmask_b32_e32 v53, v9, v10, vcc
	v_cndmask_b32_e32 v52, v4, v7, vcc
.LBB0_4:                                ;   in Loop: Header=BB0_2 Depth=1
	s_andn2_saveexec_b64 s[0:1], s[30:31]
	s_cbranch_execz .LBB0_6
; %bb.5:                                ;   in Loop: Header=BB0_2 Depth=1
	v_cvt_f32_u32_e32 v4, s28
	s_sub_i32 s30, 0, s28
	v_mov_b32_e32 v53, v3
	v_rcp_iflag_f32_e32 v4, v4
	v_mul_f32_e32 v4, 0x4f7ffffe, v4
	v_cvt_u32_f32_e32 v4, v4
	v_mul_lo_u32 v7, s30, v4
	v_mul_hi_u32 v7, v4, v7
	v_add_u32_e32 v4, v4, v7
	v_mul_hi_u32 v4, v5, v4
	v_mul_lo_u32 v7, v4, s28
	v_add_u32_e32 v8, 1, v4
	v_sub_u32_e32 v7, v5, v7
	v_subrev_u32_e32 v9, s28, v7
	v_cmp_le_u32_e32 vcc, s28, v7
	v_cndmask_b32_e32 v7, v7, v9, vcc
	v_cndmask_b32_e32 v4, v4, v8, vcc
	v_add_u32_e32 v8, 1, v4
	v_cmp_le_u32_e32 vcc, s28, v7
	v_cndmask_b32_e32 v52, v4, v8, vcc
.LBB0_6:                                ;   in Loop: Header=BB0_2 Depth=1
	s_or_b64 exec, exec, s[0:1]
	v_mul_lo_u32 v4, v53, s28
	v_mul_lo_u32 v9, v52, s29
	v_mad_u64_u32 v[7:8], s[0:1], v52, s28, 0
	s_load_dwordx2 s[0:1], s[22:23], 0x0
	s_load_dwordx2 s[28:29], s[6:7], 0x0
	v_add3_u32 v4, v8, v9, v4
	v_sub_co_u32_e32 v5, vcc, v5, v7
	v_subb_co_u32_e32 v4, vcc, v6, v4, vcc
	s_waitcnt lgkmcnt(0)
	v_mul_lo_u32 v6, s0, v4
	v_mul_lo_u32 v7, s1, v5
	v_mad_u64_u32 v[1:2], s[0:1], s0, v5, v[1:2]
	v_mul_lo_u32 v4, s28, v4
	v_mul_lo_u32 v8, s29, v5
	v_mad_u64_u32 v[50:51], s[0:1], s28, v5, v[50:51]
	s_add_u32 s26, s26, 1
	s_addc_u32 s27, s27, 0
	s_add_u32 s6, s6, 8
	v_add3_u32 v51, v8, v51, v4
	s_addc_u32 s7, s7, 0
	v_mov_b32_e32 v4, s14
	s_add_u32 s22, s22, 8
	v_mov_b32_e32 v5, s15
	s_addc_u32 s23, s23, 0
	v_cmp_ge_u64_e32 vcc, s[26:27], v[4:5]
	s_add_u32 s24, s24, 8
	v_add3_u32 v2, v7, v2, v6
	s_addc_u32 s25, s25, 0
	s_cbranch_vccnz .LBB0_9
; %bb.7:                                ;   in Loop: Header=BB0_2 Depth=1
	v_mov_b32_e32 v5, v52
	v_mov_b32_e32 v6, v53
	s_branch .LBB0_2
.LBB0_8:
	v_mov_b32_e32 v51, v2
	v_mov_b32_e32 v53, v6
	;; [unrolled: 1-line block ×4, first 2 shown]
.LBB0_9:
	s_load_dwordx2 s[0:1], s[4:5], 0x28
	s_mov_b32 s4, 0x28f5c29
	v_mul_hi_u32 v3, v0, s4
	s_lshl_b64 s[22:23], s[14:15], 3
	s_add_u32 s6, s18, s22
	s_waitcnt lgkmcnt(0)
	v_cmp_gt_u64_e64 s[0:1], s[0:1], v[52:53]
	v_mul_u32_u24_e32 v3, 0x64, v3
	v_sub_u32_e32 v78, v0, v3
	v_cmp_gt_u32_e32 vcc, 50, v78
	s_addc_u32 s7, s19, s23
	s_and_b64 s[4:5], s[0:1], vcc
	v_add_u32_e32 v79, 50, v78
                                        ; implicit-def: $vgpr12_vgpr13
                                        ; implicit-def: $vgpr16_vgpr17
                                        ; implicit-def: $vgpr20_vgpr21
                                        ; implicit-def: $vgpr24_vgpr25
                                        ; implicit-def: $vgpr28_vgpr29
                                        ; implicit-def: $vgpr32_vgpr33
                                        ; implicit-def: $vgpr36_vgpr37
                                        ; implicit-def: $vgpr44_vgpr45
                                        ; implicit-def: $vgpr40_vgpr41
                                        ; implicit-def: $vgpr48_vgpr49
	s_and_saveexec_b64 s[14:15], s[4:5]
	s_cbranch_execz .LBB0_11
; %bb.10:
	s_add_u32 s0, s16, s22
	s_addc_u32 s1, s17, s23
	s_load_dwordx2 s[0:1], s[0:1], 0x0
	v_mad_u64_u32 v[3:4], s[16:17], s20, v78, 0
	v_add_u32_e32 v12, 0xc8, v78
	v_add_u32_e32 v14, 0xfa, v78
	s_waitcnt lgkmcnt(0)
	v_mul_lo_u32 v9, s1, v52
	v_mul_lo_u32 v10, s0, v53
	v_mad_u64_u32 v[5:6], s[0:1], s0, v52, 0
	v_mov_b32_e32 v0, v4
	v_mad_u64_u32 v[7:8], s[0:1], s21, v78, v[0:1]
	v_add3_u32 v6, v6, v10, v9
	v_lshlrev_b64 v[5:6], 4, v[5:6]
	v_mov_b32_e32 v4, v7
	v_mov_b32_e32 v0, s9
	v_add_co_u32_e64 v7, s[0:1], s8, v5
	v_addc_co_u32_e64 v8, s[0:1], v0, v6, s[0:1]
	v_mad_u64_u32 v[5:6], s[0:1], s20, v79, 0
	v_lshlrev_b64 v[0:1], 4, v[1:2]
	v_add_u32_e32 v10, 0x96, v78
	v_add_co_u32_e64 v16, s[0:1], v7, v0
	v_mov_b32_e32 v2, v6
	v_addc_co_u32_e64 v17, s[0:1], v8, v1, s[0:1]
	v_lshlrev_b64 v[0:1], 4, v[3:4]
	v_mad_u64_u32 v[2:3], s[0:1], s21, v79, v[2:3]
	v_add_u32_e32 v7, 0x64, v78
	v_mad_u64_u32 v[3:4], s[0:1], s20, v7, 0
	v_add_co_u32_e64 v0, s[0:1], v16, v0
	v_mov_b32_e32 v6, v2
	v_mov_b32_e32 v2, v4
	v_addc_co_u32_e64 v1, s[0:1], v17, v1, s[0:1]
	v_mad_u64_u32 v[7:8], s[0:1], s21, v7, v[2:3]
	v_mad_u64_u32 v[8:9], s[0:1], s20, v10, 0
	v_lshlrev_b64 v[5:6], 4, v[5:6]
	v_mov_b32_e32 v4, v7
	v_add_co_u32_e64 v5, s[0:1], v16, v5
	v_lshlrev_b64 v[2:3], 4, v[3:4]
	v_mov_b32_e32 v4, v9
	v_addc_co_u32_e64 v6, s[0:1], v17, v6, s[0:1]
	v_mad_u64_u32 v[9:10], s[0:1], s21, v10, v[4:5]
	v_mad_u64_u32 v[10:11], s[0:1], s20, v12, 0
	v_add_co_u32_e64 v2, s[0:1], v16, v2
	v_mov_b32_e32 v4, v11
	v_addc_co_u32_e64 v3, s[0:1], v17, v3, s[0:1]
	v_mad_u64_u32 v[11:12], s[0:1], s21, v12, v[4:5]
	v_mad_u64_u32 v[12:13], s[0:1], s20, v14, 0
	v_lshlrev_b64 v[7:8], 4, v[8:9]
	v_lshlrev_b64 v[9:10], 4, v[10:11]
	v_add_co_u32_e64 v7, s[0:1], v16, v7
	v_mov_b32_e32 v4, v13
	v_addc_co_u32_e64 v8, s[0:1], v17, v8, s[0:1]
	v_mad_u64_u32 v[13:14], s[0:1], s21, v14, v[4:5]
	v_add_u32_e32 v11, 0x12c, v78
	v_mad_u64_u32 v[14:15], s[0:1], s20, v11, 0
	v_add_co_u32_e64 v54, s[0:1], v16, v9
	v_mov_b32_e32 v4, v15
	v_addc_co_u32_e64 v55, s[0:1], v17, v10, s[0:1]
	v_lshlrev_b64 v[9:10], 4, v[12:13]
	v_mad_u64_u32 v[11:12], s[0:1], s21, v11, v[4:5]
	v_add_u32_e32 v18, 0x15e, v78
	v_mad_u64_u32 v[12:13], s[0:1], s20, v18, 0
	v_add_co_u32_e64 v56, s[0:1], v16, v9
	v_mov_b32_e32 v15, v11
	v_mov_b32_e32 v4, v13
	v_addc_co_u32_e64 v57, s[0:1], v17, v10, s[0:1]
	v_lshlrev_b64 v[9:10], 4, v[14:15]
	v_mad_u64_u32 v[13:14], s[0:1], s21, v18, v[4:5]
	v_add_u32_e32 v11, 0x190, v78
	v_mad_u64_u32 v[14:15], s[0:1], s20, v11, 0
	v_add_co_u32_e64 v58, s[0:1], v16, v9
	v_mov_b32_e32 v4, v15
	v_addc_co_u32_e64 v59, s[0:1], v17, v10, s[0:1]
	v_lshlrev_b64 v[9:10], 4, v[12:13]
	v_mad_u64_u32 v[11:12], s[0:1], s21, v11, v[4:5]
	v_add_u32_e32 v18, 0x1c2, v78
	v_mad_u64_u32 v[12:13], s[0:1], s20, v18, 0
	v_add_co_u32_e64 v60, s[0:1], v16, v9
	v_mov_b32_e32 v15, v11
	v_mov_b32_e32 v4, v13
	v_addc_co_u32_e64 v61, s[0:1], v17, v10, s[0:1]
	v_lshlrev_b64 v[9:10], 4, v[14:15]
	v_mad_u64_u32 v[13:14], s[0:1], s21, v18, v[4:5]
	v_add_co_u32_e64 v62, s[0:1], v16, v9
	v_addc_co_u32_e64 v63, s[0:1], v17, v10, s[0:1]
	v_lshlrev_b64 v[9:10], 4, v[12:13]
	v_add_co_u32_e64 v64, s[0:1], v16, v9
	v_addc_co_u32_e64 v65, s[0:1], v17, v10, s[0:1]
	global_load_dwordx4 v[46:49], v[0:1], off
	global_load_dwordx4 v[38:41], v[5:6], off
	;; [unrolled: 1-line block ×10, first 2 shown]
.LBB0_11:
	s_or_b64 exec, exec, s[14:15]
	s_waitcnt vmcnt(3)
	v_add_f64 v[0:1], v[22:23], v[30:31]
	s_waitcnt vmcnt(1)
	v_add_f64 v[2:3], v[14:15], v[42:43]
	v_add_f64 v[4:5], v[42:43], -v[30:31]
	v_add_f64 v[6:7], v[14:15], -v[22:23]
	;; [unrolled: 1-line block ×6, first 2 shown]
	v_fma_f64 v[0:1], v[0:1], -0.5, v[46:47]
	v_fma_f64 v[2:3], v[2:3], -0.5, v[46:47]
	s_mov_b32 s8, 0x134454ff
	s_mov_b32 s9, 0xbfee6f0e
	;; [unrolled: 1-line block ×4, first 2 shown]
	v_add_f64 v[4:5], v[6:7], v[4:5]
	v_add_f64 v[6:7], v[54:55], v[8:9]
	v_fma_f64 v[8:9], v[56:57], s[8:9], v[0:1]
	v_fma_f64 v[0:1], v[56:57], s[0:1], v[0:1]
	;; [unrolled: 1-line block ×4, first 2 shown]
	v_add_f64 v[60:61], v[18:19], v[26:27]
	s_mov_b32 s18, 0x4755a5e
	s_mov_b32 s19, 0xbfe2cf23
	;; [unrolled: 1-line block ×4, first 2 shown]
	v_fma_f64 v[8:9], v[58:59], s[18:19], v[8:9]
	v_fma_f64 v[0:1], v[58:59], s[14:15], v[0:1]
	v_fma_f64 v[54:55], v[56:57], s[18:19], v[54:55]
	v_fma_f64 v[62:63], v[60:61], -0.5, v[38:39]
	s_waitcnt vmcnt(0)
	v_add_f64 v[64:65], v[36:37], -v[12:13]
	v_fma_f64 v[2:3], v[56:57], s[14:15], v[2:3]
	v_add_f64 v[56:57], v[10:11], v[34:35]
	s_mov_b32 s16, 0x372fe950
	s_mov_b32 s17, 0x3fd3c6ef
	v_fma_f64 v[8:9], v[4:5], s[16:17], v[8:9]
	v_add_f64 v[68:69], v[34:35], -v[26:27]
	v_add_f64 v[70:71], v[10:11], -v[18:19]
	v_fma_f64 v[72:73], v[64:65], s[8:9], v[62:63]
	v_add_f64 v[74:75], v[28:29], -v[20:21]
	v_fma_f64 v[58:59], v[4:5], s[16:17], v[0:1]
	v_fma_f64 v[66:67], v[6:7], s[16:17], v[2:3]
	v_fma_f64 v[0:1], v[56:57], -0.5, v[38:39]
	v_fma_f64 v[2:3], v[64:65], s[0:1], v[62:63]
	v_add_f64 v[4:5], v[20:21], v[28:29]
	v_add_f64 v[56:57], v[12:13], v[36:37]
	v_fma_f64 v[60:61], v[6:7], s[16:17], v[54:55]
	v_add_f64 v[6:7], v[70:71], v[68:69]
	v_fma_f64 v[54:55], v[74:75], s[18:19], v[72:73]
	v_add_f64 v[72:73], v[34:35], -v[10:11]
	v_fma_f64 v[70:71], v[74:75], s[0:1], v[0:1]
	v_fma_f64 v[2:3], v[74:75], s[14:15], v[2:3]
	v_fma_f64 v[4:5], v[4:5], -0.5, v[40:41]
	v_fma_f64 v[0:1], v[74:75], s[8:9], v[0:1]
	v_fma_f64 v[56:57], v[56:57], -0.5, v[40:41]
	v_add_f64 v[74:75], v[26:27], -v[18:19]
	v_add_f64 v[62:63], v[26:27], -v[34:35]
	;; [unrolled: 1-line block ×5, first 2 shown]
	v_fma_f64 v[80:81], v[72:73], s[0:1], v[4:5]
	v_add_f64 v[46:47], v[42:43], v[46:47]
	v_add_f64 v[76:77], v[12:13], -v[20:21]
	v_fma_f64 v[86:87], v[74:75], s[8:9], v[56:57]
	v_fma_f64 v[56:57], v[74:75], s[0:1], v[56:57]
	v_add_f64 v[68:69], v[68:69], v[62:63]
	v_add_f64 v[62:63], v[36:37], -v[28:29]
	v_fma_f64 v[4:5], v[72:73], s[8:9], v[4:5]
	v_fma_f64 v[70:71], v[64:65], s[18:19], v[70:71]
	;; [unrolled: 1-line block ×4, first 2 shown]
	v_add_f64 v[80:81], v[84:85], v[82:83]
	v_fma_f64 v[82:83], v[72:73], s[14:15], v[86:87]
	v_add_f64 v[84:85], v[30:31], v[46:47]
	v_add_f64 v[86:87], v[34:35], v[38:39]
	v_fma_f64 v[56:57], v[72:73], s[18:19], v[56:57]
	v_add_f64 v[76:77], v[76:77], v[62:63]
	v_fma_f64 v[4:5], v[74:75], s[18:19], v[4:5]
	v_fma_f64 v[62:63], v[6:7], s[16:17], v[54:55]
	;; [unrolled: 1-line block ×4, first 2 shown]
	v_add_f64 v[2:3], v[22:23], v[84:85]
	v_add_f64 v[6:7], v[26:27], v[86:87]
	v_fma_f64 v[54:55], v[80:81], s[16:17], v[56:57]
	v_fma_f64 v[38:39], v[76:77], s[16:17], v[64:65]
	;; [unrolled: 1-line block ×5, first 2 shown]
	v_mul_f64 v[4:5], v[46:47], s[8:9]
	v_add_f64 v[68:69], v[14:15], v[2:3]
	v_add_f64 v[2:3], v[18:19], v[6:7]
	v_mul_f64 v[6:7], v[54:55], s[8:9]
	v_mul_f64 v[0:1], v[38:39], s[18:19]
	;; [unrolled: 1-line block ×3, first 2 shown]
	s_mov_b32 s20, 0x9b97f4a8
	s_mov_b32 s23, 0xbfd3c6ef
	;; [unrolled: 1-line block ×4, first 2 shown]
	v_fma_f64 v[18:19], v[64:65], s[16:17], v[4:5]
	v_fma_f64 v[76:77], v[26:27], s[22:23], v[6:7]
	s_mov_b32 s23, 0xbfe9e377
	s_mov_b32 s22, s20
	v_fma_f64 v[70:71], v[62:63], s[20:21], v[0:1]
	v_fma_f64 v[72:73], v[34:35], s[22:23], v[72:73]
	v_add_f64 v[74:75], v[10:11], v[2:3]
	v_add_f64 v[6:7], v[60:61], -v[18:19]
	v_add_f64 v[0:1], v[66:67], -v[76:77]
	;; [unrolled: 1-line block ×5, first 2 shown]
	s_and_saveexec_b64 s[22:23], vcc
	s_cbranch_execz .LBB0_13
; %bb.12:
	v_add_f64 v[70:71], v[8:9], v[70:71]
	v_add_f64 v[68:69], v[74:75], v[68:69]
	;; [unrolled: 1-line block ×5, first 2 shown]
	v_mul_u32_u24_e32 v18, 10, v78
	v_lshl_add_u32 v18, v18, 3, 0
	ds_write_b128 v18, v[68:71]
	ds_write_b128 v18, v[74:77] offset:16
	ds_write_b128 v18, v[8:11] offset:32
	;; [unrolled: 1-line block ×4, first 2 shown]
.LBB0_13:
	s_or_b64 exec, exec, s[22:23]
	v_add_f64 v[8:9], v[24:25], v[32:33]
	v_add_f64 v[18:19], v[16:17], v[44:45]
	;; [unrolled: 1-line block ×3, first 2 shown]
	v_add_f64 v[14:15], v[42:43], -v[14:15]
	v_add_f64 v[22:23], v[30:31], -v[22:23]
	v_add_f64 v[36:37], v[36:37], v[40:41]
	v_add_f64 v[30:31], v[44:45], -v[32:33]
	v_add_f64 v[42:43], v[16:17], -v[24:25]
	v_fma_f64 v[8:9], v[8:9], -0.5, v[48:49]
	v_fma_f64 v[18:19], v[18:19], -0.5, v[48:49]
	v_add_f64 v[44:45], v[32:33], -v[44:45]
	v_add_f64 v[48:49], v[24:25], -v[16:17]
	v_add_f64 v[32:33], v[32:33], v[58:59]
	v_add_f64 v[28:29], v[28:29], v[36:37]
	v_mul_f64 v[60:61], v[62:63], s[14:15]
	v_mul_f64 v[62:63], v[64:65], s[0:1]
	v_fma_f64 v[40:41], v[14:15], s[0:1], v[8:9]
	v_fma_f64 v[8:9], v[14:15], s[8:9], v[8:9]
	;; [unrolled: 1-line block ×4, first 2 shown]
	v_add_f64 v[30:31], v[42:43], v[30:31]
	v_add_f64 v[44:45], v[48:49], v[44:45]
	;; [unrolled: 1-line block ×3, first 2 shown]
	v_fma_f64 v[48:49], v[38:39], s[20:21], v[60:61]
	v_fma_f64 v[32:33], v[22:23], s[14:15], v[40:41]
	;; [unrolled: 1-line block ×5, first 2 shown]
	v_add_f64 v[18:19], v[20:21], v[28:29]
	v_mul_f64 v[20:21], v[54:55], s[16:17]
	v_mul_f64 v[28:29], v[56:57], s[20:21]
	v_add_f64 v[42:43], v[16:17], v[24:25]
	v_fma_f64 v[40:41], v[30:31], s[16:17], v[32:33]
	v_fma_f64 v[16:17], v[30:31], s[16:17], v[8:9]
	;; [unrolled: 1-line block ×4, first 2 shown]
	v_add_f64 v[54:55], v[12:13], v[18:19]
	v_fma_f64 v[44:45], v[46:47], s[16:17], v[62:63]
	v_fma_f64 v[38:39], v[26:27], s[0:1], -v[20:21]
	v_fma_f64 v[34:35], v[34:35], s[14:15], -v[28:29]
	v_add_f64 v[20:21], v[40:41], -v[48:49]
	v_lshl_add_u32 v56, v78, 3, 0
	v_add_u32_e32 v46, 0x400, v56
	s_waitcnt lgkmcnt(0)
	v_add_f64 v[18:19], v[42:43], -v[54:55]
	v_add_f64 v[22:23], v[36:37], -v[44:45]
	;; [unrolled: 1-line block ×4, first 2 shown]
	s_barrier
	ds_read2_b64 v[24:27], v56 offset1:100
	ds_read2_b64 v[28:31], v46 offset0:72 offset1:172
	ds_read_b64 v[8:9], v56 offset:3200
	s_waitcnt lgkmcnt(0)
	s_barrier
	s_and_saveexec_b64 s[0:1], vcc
	s_cbranch_execz .LBB0_15
; %bb.14:
	v_add_f64 v[57:58], v[54:55], v[42:43]
	v_add_f64 v[59:60], v[40:41], v[48:49]
	;; [unrolled: 1-line block ×5, first 2 shown]
	s_movk_i32 s8, 0x48
	v_mad_u32_u24 v32, v78, s8, v56
	ds_write_b128 v32, v[57:60]
	ds_write_b128 v32, v[36:39] offset:16
	ds_write_b128 v32, v[16:19] offset:32
	;; [unrolled: 1-line block ×4, first 2 shown]
.LBB0_15:
	s_or_b64 exec, exec, s[0:1]
	s_load_dwordx2 s[0:1], s[6:7], 0x0
	s_movk_i32 s6, 0xcd
	v_mul_lo_u16_sdwa v16, v78, s6 dst_sel:DWORD dst_unused:UNUSED_PAD src0_sel:BYTE_0 src1_sel:DWORD
	v_lshrrev_b16_e32 v73, 11, v16
	v_mul_lo_u16_e32 v16, 10, v73
	v_sub_u16_e32 v74, v78, v16
	v_mov_b32_e32 v16, 6
	v_lshlrev_b32_sdwa v16, v16, v74 dst_sel:DWORD dst_unused:UNUSED_PAD src0_sel:DWORD src1_sel:BYTE_0
	s_waitcnt lgkmcnt(0)
	s_barrier
	global_load_dwordx4 v[42:45], v16, s[12:13] offset:16
	global_load_dwordx4 v[57:60], v16, s[12:13] offset:32
	global_load_dwordx4 v[61:64], v16, s[12:13]
	global_load_dwordx4 v[65:68], v16, s[12:13] offset:48
	ds_read2_b64 v[69:72], v46 offset0:72 offset1:172
	ds_read2_b64 v[32:35], v56 offset1:100
	ds_read_b64 v[16:17], v56 offset:3200
	s_mov_b32 s6, 0x134454ff
	s_mov_b32 s7, 0xbfee6f0e
	;; [unrolled: 1-line block ×9, first 2 shown]
	s_waitcnt vmcnt(0) lgkmcnt(0)
	s_barrier
	v_mul_f64 v[36:37], v[69:70], v[44:45]
	v_mul_f64 v[38:39], v[71:72], v[59:60]
	;; [unrolled: 1-line block ×8, first 2 shown]
	v_fma_f64 v[36:37], v[28:29], v[42:43], v[36:37]
	v_fma_f64 v[38:39], v[30:31], v[57:58], v[38:39]
	;; [unrolled: 1-line block ×4, first 2 shown]
	v_fma_f64 v[44:45], v[34:35], v[61:62], -v[48:49]
	v_fma_f64 v[42:43], v[69:70], v[42:43], -v[54:55]
	;; [unrolled: 1-line block ×4, first 2 shown]
	v_add_f64 v[8:9], v[36:37], v[38:39]
	v_add_f64 v[28:29], v[24:25], v[40:41]
	;; [unrolled: 1-line block ×3, first 2 shown]
	v_add_f64 v[54:55], v[46:47], -v[38:39]
	v_add_f64 v[57:58], v[36:37], -v[40:41]
	;; [unrolled: 1-line block ×5, first 2 shown]
	v_fma_f64 v[8:9], v[8:9], -0.5, v[24:25]
	v_add_f64 v[28:29], v[28:29], v[36:37]
	v_fma_f64 v[24:25], v[26:27], -0.5, v[24:25]
	v_add_f64 v[26:27], v[40:41], -v[36:37]
	v_add_f64 v[57:58], v[57:58], v[59:60]
	v_fma_f64 v[61:62], v[30:31], s[6:7], v[8:9]
	v_fma_f64 v[8:9], v[30:31], s[16:17], v[8:9]
	;; [unrolled: 1-line block ×4, first 2 shown]
	v_add_f64 v[54:55], v[26:27], v[54:55]
	v_add_f64 v[26:27], v[28:29], v[38:39]
	v_mov_b32_e32 v59, 3
	v_mul_u32_u24_e32 v60, 0x190, v73
	v_fma_f64 v[28:29], v[48:49], s[8:9], v[61:62]
	v_fma_f64 v[8:9], v[48:49], s[14:15], v[8:9]
	;; [unrolled: 1-line block ×4, first 2 shown]
	v_add_f64 v[24:25], v[26:27], v[46:47]
	v_fma_f64 v[26:27], v[54:55], s[18:19], v[28:29]
	v_fma_f64 v[8:9], v[54:55], s[18:19], v[8:9]
	;; [unrolled: 1-line block ×4, first 2 shown]
	v_lshlrev_b32_sdwa v48, v59, v74 dst_sel:DWORD dst_unused:UNUSED_PAD src0_sel:DWORD src1_sel:BYTE_0
	v_add3_u32 v48, 0, v60, v48
	ds_write2_b64 v48, v[24:25], v[26:27] offset1:10
	ds_write2_b64 v48, v[28:29], v[30:31] offset0:20 offset1:30
	ds_write_b64 v48, v[8:9] offset:320
	s_waitcnt lgkmcnt(0)
	s_barrier
	s_and_saveexec_b64 s[20:21], vcc
	s_cbranch_execz .LBB0_17
; %bb.16:
	ds_read2_b64 v[24:27], v56 offset1:50
	ds_read2_b64 v[28:31], v56 offset0:100 offset1:150
	ds_read2_b64 v[8:11], v56 offset0:200 offset1:250
	v_add_u32_e32 v0, 0x800, v56
	ds_read2_b64 v[4:7], v0 offset0:44 offset1:94
	ds_read2_b64 v[0:3], v0 offset0:144 offset1:194
.LBB0_17:
	s_or_b64 exec, exec, s[20:21]
	v_add_f64 v[54:55], v[42:43], v[34:35]
	v_add_f64 v[57:58], v[44:45], v[16:17]
	;; [unrolled: 1-line block ×3, first 2 shown]
	v_add_f64 v[40:41], v[40:41], -v[46:47]
	v_add_f64 v[36:37], v[36:37], -v[38:39]
	;; [unrolled: 1-line block ×4, first 2 shown]
	s_waitcnt lgkmcnt(0)
	v_fma_f64 v[38:39], v[54:55], -0.5, v[32:33]
	v_fma_f64 v[32:33], v[57:58], -0.5, v[32:33]
	v_add_f64 v[54:55], v[16:17], -v[34:35]
	v_add_f64 v[57:58], v[34:35], -v[16:17]
	v_add_f64 v[42:43], v[59:60], v[42:43]
	s_barrier
	v_fma_f64 v[59:60], v[40:41], s[16:17], v[38:39]
	v_fma_f64 v[61:62], v[36:37], s[6:7], v[32:33]
	;; [unrolled: 1-line block ×4, first 2 shown]
	v_add_f64 v[46:47], v[46:47], v[54:55]
	v_add_f64 v[44:45], v[44:45], v[57:58]
	;; [unrolled: 1-line block ×3, first 2 shown]
	v_fma_f64 v[42:43], v[36:37], s[14:15], v[59:60]
	v_fma_f64 v[54:55], v[40:41], s[14:15], v[61:62]
	;; [unrolled: 1-line block ×4, first 2 shown]
	v_add_f64 v[32:33], v[34:35], v[16:17]
	v_fma_f64 v[34:35], v[46:47], s[18:19], v[42:43]
	v_fma_f64 v[36:37], v[44:45], s[18:19], v[54:55]
	;; [unrolled: 1-line block ×4, first 2 shown]
	ds_write2_b64 v48, v[32:33], v[34:35] offset1:10
	ds_write2_b64 v48, v[36:37], v[38:39] offset0:20 offset1:30
	ds_write_b64 v48, v[16:17] offset:320
	s_waitcnt lgkmcnt(0)
	s_barrier
	s_and_saveexec_b64 s[6:7], vcc
	s_cbranch_execnz .LBB0_20
; %bb.18:
	s_or_b64 exec, exec, s[6:7]
	s_and_saveexec_b64 s[6:7], s[4:5]
	s_cbranch_execnz .LBB0_21
.LBB0_19:
	s_endpgm
.LBB0_20:
	ds_read2_b64 v[32:35], v56 offset1:50
	ds_read2_b64 v[36:39], v56 offset0:100 offset1:150
	ds_read2_b64 v[16:19], v56 offset0:200 offset1:250
	v_add_u32_e32 v12, 0x800, v56
	ds_read2_b64 v[20:23], v12 offset0:44 offset1:94
	ds_read2_b64 v[12:15], v12 offset0:144 offset1:194
	s_or_b64 exec, exec, s[6:7]
	s_and_saveexec_b64 s[6:7], s[4:5]
	s_cbranch_execz .LBB0_19
.LBB0_21:
	v_mul_u32_u24_e32 v40, 9, v78
	v_lshlrev_b32_e32 v48, 4, v40
	global_load_dwordx4 v[40:43], v48, s[12:13] offset:688
	global_load_dwordx4 v[44:47], v48, s[12:13] offset:704
	;; [unrolled: 1-line block ×9, first 2 shown]
	v_mul_lo_u32 v84, s1, v52
	v_mul_lo_u32 v53, s0, v53
	v_mad_u64_u32 v[48:49], s[0:1], s0, v52, 0
	s_mov_b32 s0, 0x134454ff
	s_mov_b32 s1, 0xbfee6f0e
	v_add3_u32 v49, v49, v53, v84
	s_mov_b32 s5, 0x3fee6f0e
	s_mov_b32 s4, s0
	;; [unrolled: 1-line block ×12, first 2 shown]
	s_waitcnt vmcnt(8)
	v_mul_f64 v[52:53], v[8:9], v[42:43]
	s_waitcnt lgkmcnt(2)
	v_mul_f64 v[42:43], v[16:17], v[42:43]
	s_waitcnt vmcnt(7)
	v_mul_f64 v[84:85], v[18:19], v[46:47]
	v_mul_f64 v[46:47], v[10:11], v[46:47]
	s_waitcnt vmcnt(6)
	v_mul_f64 v[86:87], v[4:5], v[56:57]
	s_waitcnt vmcnt(5) lgkmcnt(1)
	v_mul_f64 v[88:89], v[22:23], v[60:61]
	v_mul_f64 v[60:61], v[6:7], v[60:61]
	s_waitcnt vmcnt(4)
	v_mul_f64 v[90:91], v[28:29], v[64:65]
	s_waitcnt vmcnt(3)
	v_mul_f64 v[92:93], v[0:1], v[68:69]
	s_waitcnt vmcnt(2)
	v_mul_f64 v[94:95], v[38:39], v[72:73]
	s_waitcnt vmcnt(1) lgkmcnt(0)
	v_mul_f64 v[96:97], v[14:15], v[76:77]
	v_mul_f64 v[72:73], v[30:31], v[72:73]
	s_waitcnt vmcnt(0)
	v_mul_f64 v[98:99], v[34:35], v[82:83]
	v_mul_f64 v[76:77], v[2:3], v[76:77]
	;; [unrolled: 1-line block ×6, first 2 shown]
	v_fma_f64 v[16:17], v[16:17], v[40:41], -v[52:53]
	v_fma_f64 v[8:9], v[8:9], v[40:41], v[42:43]
	v_fma_f64 v[10:11], v[10:11], v[44:45], v[84:85]
	v_fma_f64 v[18:19], v[18:19], v[44:45], -v[46:47]
	v_fma_f64 v[20:21], v[20:21], v[54:55], -v[86:87]
	v_fma_f64 v[40:41], v[6:7], v[58:59], v[88:89]
	v_fma_f64 v[6:7], v[22:23], v[58:59], -v[60:61]
	v_fma_f64 v[22:23], v[36:37], v[62:63], -v[90:91]
	;; [unrolled: 1-line block ×3, first 2 shown]
	v_fma_f64 v[30:31], v[30:31], v[70:71], v[94:95]
	v_fma_f64 v[36:37], v[2:3], v[74:75], v[96:97]
	v_fma_f64 v[2:3], v[38:39], v[70:71], -v[72:73]
	v_fma_f64 v[14:15], v[14:15], v[74:75], -v[76:77]
	;; [unrolled: 1-line block ×3, first 2 shown]
	v_fma_f64 v[4:5], v[4:5], v[54:55], v[56:57]
	v_fma_f64 v[28:29], v[28:29], v[62:63], v[64:65]
	;; [unrolled: 1-line block ×4, first 2 shown]
	v_add_f64 v[38:39], v[22:23], -v[16:17]
	v_add_f64 v[42:43], v[12:13], -v[20:21]
	v_add_f64 v[44:45], v[16:17], v[20:21]
	v_add_f64 v[46:47], v[30:31], -v[10:11]
	v_add_f64 v[52:53], v[22:23], v[12:13]
	v_add_f64 v[54:55], v[36:37], -v[40:41]
	v_add_f64 v[56:57], v[2:3], -v[18:19]
	;; [unrolled: 1-line block ×5, first 2 shown]
	v_add_f64 v[70:71], v[2:3], v[34:35]
	v_add_f64 v[76:77], v[18:19], v[6:7]
	;; [unrolled: 1-line block ×4, first 2 shown]
	v_add_f64 v[64:65], v[10:11], -v[30:31]
	v_add_f64 v[66:67], v[32:33], v[22:23]
	v_add_f64 v[68:69], v[40:41], -v[36:37]
	v_add_f64 v[72:73], v[18:19], -v[2:3]
	;; [unrolled: 1-line block ×6, first 2 shown]
	v_add_f64 v[90:91], v[10:11], v[40:41]
	v_add_f64 v[92:93], v[10:11], -v[40:41]
	v_add_f64 v[94:95], v[30:31], -v[36:37]
	v_fma_f64 v[44:45], v[44:45], -0.5, v[32:33]
	v_fma_f64 v[32:33], v[52:53], -0.5, v[32:33]
	v_add_f64 v[38:39], v[38:39], v[42:43]
	v_add_f64 v[42:43], v[46:47], v[54:55]
	;; [unrolled: 1-line block ×5, first 2 shown]
	v_fma_f64 v[58:59], v[76:77], -0.5, v[34:35]
	v_fma_f64 v[34:35], v[80:81], -0.5, v[34:35]
	;; [unrolled: 1-line block ×3, first 2 shown]
	v_add_f64 v[2:3], v[2:3], -v[14:15]
	v_add_f64 v[54:55], v[64:65], v[68:69]
	v_add_f64 v[56:57], v[72:73], v[74:75]
	v_fma_f64 v[62:63], v[90:91], -0.5, v[26:27]
	v_add_f64 v[64:65], v[66:67], v[16:17]
	v_add_f64 v[6:7], v[6:7], v[18:19]
	v_fma_f64 v[18:19], v[82:83], s[4:5], v[32:33]
	v_fma_f64 v[32:33], v[82:83], s[0:1], v[32:33]
	;; [unrolled: 1-line block ×20, first 2 shown]
	v_add_f64 v[64:65], v[64:65], v[20:21]
	v_fma_f64 v[34:35], v[94:95], s[8:9], v[34:35]
	v_fma_f64 v[44:45], v[82:83], s[8:9], v[44:45]
	;; [unrolled: 1-line block ×11, first 2 shown]
	v_add_f64 v[58:59], v[8:9], v[4:5]
	v_add_f64 v[66:67], v[14:15], v[6:7]
	;; [unrolled: 1-line block ×3, first 2 shown]
	v_add_f64 v[22:23], v[22:23], -v[12:13]
	v_add_f64 v[64:65], v[12:13], v[64:65]
	v_fma_f64 v[12:13], v[54:55], s[12:13], v[68:69]
	v_fma_f64 v[34:35], v[56:57], s[12:13], v[34:35]
	v_add_f64 v[54:55], v[28:29], -v[8:9]
	v_fma_f64 v[56:57], v[42:43], s[12:13], v[70:71]
	v_fma_f64 v[38:39], v[38:39], s[12:13], v[44:45]
	v_add_f64 v[44:45], v[0:1], -v[4:5]
	v_fma_f64 v[42:43], v[42:43], s[12:13], v[62:63]
	v_mul_f64 v[62:63], v[2:3], s[14:15]
	v_fma_f64 v[58:59], v[58:59], -0.5, v[24:25]
	v_fma_f64 v[6:7], v[6:7], -0.5, v[24:25]
	v_add_f64 v[24:25], v[24:25], v[28:29]
	v_add_f64 v[16:17], v[16:17], -v[20:21]
	v_mul_f64 v[2:3], v[2:3], s[6:7]
	v_add_f64 v[26:27], v[30:31], v[26:27]
	v_add_f64 v[14:15], v[54:55], v[44:45]
	v_mul_f64 v[44:45], v[52:53], s[16:17]
	v_fma_f64 v[54:55], v[56:57], s[8:9], v[62:63]
	v_add_f64 v[62:63], v[8:9], -v[28:29]
	v_add_f64 v[68:69], v[4:5], -v[0:1]
	v_add_f64 v[8:9], v[24:25], v[8:9]
	v_fma_f64 v[24:25], v[16:17], s[0:1], v[6:7]
	v_fma_f64 v[6:7], v[16:17], s[4:5], v[6:7]
	;; [unrolled: 1-line block ×3, first 2 shown]
	s_mov_b32 s15, 0x3fe9e377
	v_fma_f64 v[56:57], v[22:23], s[4:5], v[58:59]
	v_fma_f64 v[58:59], v[22:23], s[0:1], v[58:59]
	v_add_f64 v[10:11], v[10:11], v[26:27]
	v_mul_f64 v[26:27], v[46:47], s[14:15]
	v_fma_f64 v[28:29], v[12:13], s[4:5], v[44:45]
	v_add_f64 v[44:45], v[62:63], v[68:69]
	v_fma_f64 v[24:25], v[22:23], s[8:9], v[24:25]
	v_mul_f64 v[52:53], v[52:53], s[0:1]
	v_fma_f64 v[22:23], v[22:23], s[6:7], v[6:7]
	v_mul_f64 v[30:31], v[34:35], s[12:13]
	v_fma_f64 v[56:57], v[16:17], s[8:9], v[56:57]
	v_fma_f64 v[16:17], v[16:17], s[6:7], v[58:59]
	;; [unrolled: 1-line block ×3, first 2 shown]
	v_mul_f64 v[26:27], v[34:35], s[0:1]
	v_mul_f64 v[34:35], v[46:47], s[6:7]
	v_add_f64 v[4:5], v[8:9], v[4:5]
	v_add_f64 v[8:9], v[40:41], v[10:11]
	v_fma_f64 v[24:25], v[44:45], s[12:13], v[24:25]
	v_fma_f64 v[40:41], v[12:13], s[16:17], v[52:53]
	v_add_f64 v[2:3], v[60:61], -v[54:55]
	v_fma_f64 v[44:45], v[44:45], s[12:13], v[22:23]
	v_add_f64 v[22:23], v[60:61], v[54:55]
	v_mad_u64_u32 v[54:55], s[0:1], s2, v78, 0
	v_fma_f64 v[30:31], v[18:19], s[4:5], v[30:31]
	v_fma_f64 v[46:47], v[18:19], s[12:13], v[26:27]
	;; [unrolled: 1-line block ×4, first 2 shown]
	v_add_f64 v[62:63], v[0:1], v[4:5]
	v_add_f64 v[36:37], v[36:37], v[8:9]
	v_add_f64 v[6:7], v[74:75], -v[28:29]
	v_add_f64 v[26:27], v[74:75], v[28:29]
	v_mov_b32_e32 v28, v55
	v_add_f64 v[4:5], v[24:25], -v[40:41]
	v_add_f64 v[24:25], v[24:25], v[40:41]
	v_mad_u64_u32 v[40:41], s[0:1], s3, v78, v[28:29]
	v_fma_f64 v[56:57], v[14:15], s[12:13], v[56:57]
	v_add_f64 v[10:11], v[32:33], -v[30:31]
	v_mov_b32_e32 v55, v40
	v_lshlrev_b64 v[40:41], 4, v[48:49]
	v_add_f64 v[14:15], v[38:39], -v[58:59]
	v_add_f64 v[8:9], v[44:45], -v[46:47]
	;; [unrolled: 1-line block ×4, first 2 shown]
	v_add_f64 v[30:31], v[32:33], v[30:31]
	v_add_f64 v[34:35], v[38:39], v[58:59]
	;; [unrolled: 1-line block ×6, first 2 shown]
	v_mov_b32_e32 v42, s11
	v_add_co_u32_e32 v44, vcc, s10, v40
	v_addc_co_u32_e32 v45, vcc, v42, v41, vcc
	v_lshlrev_b64 v[40:41], 4, v[50:51]
	v_mad_u64_u32 v[42:43], s[0:1], s2, v79, 0
	v_add_co_u32_e32 v46, vcc, v44, v40
	v_addc_co_u32_e32 v45, vcc, v45, v41, vcc
	v_lshlrev_b64 v[40:41], 4, v[54:55]
	v_mad_u64_u32 v[43:44], s[0:1], s3, v79, v[43:44]
	v_add_co_u32_e32 v40, vcc, v46, v40
	v_addc_co_u32_e32 v41, vcc, v45, v41, vcc
	global_store_dwordx4 v[40:41], v[36:39], off
	v_add_u32_e32 v40, 0x64, v78
	v_mad_u64_u32 v[38:39], s[0:1], s2, v40, 0
	v_lshlrev_b64 v[36:37], 4, v[42:43]
	v_add_u32_e32 v42, 0x96, v78
	v_mad_u64_u32 v[39:40], s[0:1], s3, v40, v[39:40]
	v_add_co_u32_e32 v36, vcc, v46, v36
	v_addc_co_u32_e32 v37, vcc, v45, v37, vcc
	v_mad_u64_u32 v[40:41], s[0:1], s2, v42, 0
	global_store_dwordx4 v[36:37], v[32:35], off
	v_add_f64 v[0:1], v[56:57], -v[20:21]
	v_lshlrev_b64 v[32:33], 4, v[38:39]
	v_mov_b32_e32 v34, v41
	v_add_co_u32_e32 v32, vcc, v46, v32
	v_addc_co_u32_e32 v33, vcc, v45, v33, vcc
	v_mad_u64_u32 v[34:35], s[0:1], s3, v42, v[34:35]
	global_store_dwordx4 v[32:33], v[28:31], off
	v_add_u32_e32 v32, 0xc8, v78
	v_mad_u64_u32 v[30:31], s[0:1], s2, v32, 0
	v_mov_b32_e32 v41, v34
	v_add_f64 v[20:21], v[56:57], v[20:21]
	v_lshlrev_b64 v[28:29], 4, v[40:41]
	v_mad_u64_u32 v[31:32], s[0:1], s3, v32, v[31:32]
	v_add_co_u32_e32 v28, vcc, v46, v28
	v_add_u32_e32 v34, 0xfa, v78
	v_addc_co_u32_e32 v29, vcc, v45, v29, vcc
	v_mad_u64_u32 v[32:33], s[0:1], s2, v34, 0
	global_store_dwordx4 v[28:29], v[24:27], off
	v_add_f64 v[18:19], v[64:65], -v[66:67]
	v_lshlrev_b64 v[24:25], 4, v[30:31]
	v_mov_b32_e32 v26, v33
	v_add_co_u32_e32 v24, vcc, v46, v24
	v_addc_co_u32_e32 v25, vcc, v45, v25, vcc
	v_mad_u64_u32 v[26:27], s[0:1], s3, v34, v[26:27]
	global_store_dwordx4 v[24:25], v[20:23], off
	v_add_u32_e32 v24, 0x12c, v78
	v_mad_u64_u32 v[22:23], s[0:1], s2, v24, 0
	v_mov_b32_e32 v33, v26
	v_lshlrev_b64 v[20:21], 4, v[32:33]
	v_mad_u64_u32 v[23:24], s[0:1], s3, v24, v[23:24]
	v_add_co_u32_e32 v20, vcc, v46, v20
	v_addc_co_u32_e32 v21, vcc, v45, v21, vcc
	v_add_u32_e32 v26, 0x15e, v78
	v_mad_u64_u32 v[24:25], s[0:1], s2, v26, 0
	global_store_dwordx4 v[20:21], v[16:19], off
	s_nop 0
	v_lshlrev_b64 v[16:17], 4, v[22:23]
	v_mov_b32_e32 v18, v25
	v_add_co_u32_e32 v16, vcc, v46, v16
	v_addc_co_u32_e32 v17, vcc, v45, v17, vcc
	global_store_dwordx4 v[16:17], v[12:15], off
	v_add_u32_e32 v16, 0x190, v78
	v_mad_u64_u32 v[18:19], s[0:1], s3, v26, v[18:19]
	v_mad_u64_u32 v[14:15], s[0:1], s2, v16, 0
	v_mov_b32_e32 v25, v18
	v_add_u32_e32 v18, 0x1c2, v78
	v_mad_u64_u32 v[15:16], s[0:1], s3, v16, v[15:16]
	v_lshlrev_b64 v[12:13], 4, v[24:25]
	v_mad_u64_u32 v[16:17], s[0:1], s2, v18, 0
	v_add_co_u32_e32 v12, vcc, v46, v12
	v_addc_co_u32_e32 v13, vcc, v45, v13, vcc
	global_store_dwordx4 v[12:13], v[8:11], off
	s_nop 0
	v_mov_b32_e32 v10, v17
	v_mad_u64_u32 v[10:11], s[0:1], s3, v18, v[10:11]
	v_lshlrev_b64 v[8:9], 4, v[14:15]
	v_add_co_u32_e32 v8, vcc, v46, v8
	v_addc_co_u32_e32 v9, vcc, v45, v9, vcc
	v_mov_b32_e32 v17, v10
	global_store_dwordx4 v[8:9], v[4:7], off
	s_nop 0
	v_lshlrev_b64 v[4:5], 4, v[16:17]
	v_add_co_u32_e32 v4, vcc, v46, v4
	v_addc_co_u32_e32 v5, vcc, v45, v5, vcc
	global_store_dwordx4 v[4:5], v[0:3], off
	s_endpgm
	.section	.rodata,"a",@progbits
	.p2align	6, 0x0
	.amdhsa_kernel fft_rtc_back_len500_factors_10_5_10_wgs_100_tpt_100_halfLds_dp_op_CI_CI_sbrr_dirReg
		.amdhsa_group_segment_fixed_size 0
		.amdhsa_private_segment_fixed_size 0
		.amdhsa_kernarg_size 104
		.amdhsa_user_sgpr_count 6
		.amdhsa_user_sgpr_private_segment_buffer 1
		.amdhsa_user_sgpr_dispatch_ptr 0
		.amdhsa_user_sgpr_queue_ptr 0
		.amdhsa_user_sgpr_kernarg_segment_ptr 1
		.amdhsa_user_sgpr_dispatch_id 0
		.amdhsa_user_sgpr_flat_scratch_init 0
		.amdhsa_user_sgpr_private_segment_size 0
		.amdhsa_uses_dynamic_stack 0
		.amdhsa_system_sgpr_private_segment_wavefront_offset 0
		.amdhsa_system_sgpr_workgroup_id_x 1
		.amdhsa_system_sgpr_workgroup_id_y 0
		.amdhsa_system_sgpr_workgroup_id_z 0
		.amdhsa_system_sgpr_workgroup_info 0
		.amdhsa_system_vgpr_workitem_id 0
		.amdhsa_next_free_vgpr 100
		.amdhsa_next_free_sgpr 32
		.amdhsa_reserve_vcc 1
		.amdhsa_reserve_flat_scratch 0
		.amdhsa_float_round_mode_32 0
		.amdhsa_float_round_mode_16_64 0
		.amdhsa_float_denorm_mode_32 3
		.amdhsa_float_denorm_mode_16_64 3
		.amdhsa_dx10_clamp 1
		.amdhsa_ieee_mode 1
		.amdhsa_fp16_overflow 0
		.amdhsa_exception_fp_ieee_invalid_op 0
		.amdhsa_exception_fp_denorm_src 0
		.amdhsa_exception_fp_ieee_div_zero 0
		.amdhsa_exception_fp_ieee_overflow 0
		.amdhsa_exception_fp_ieee_underflow 0
		.amdhsa_exception_fp_ieee_inexact 0
		.amdhsa_exception_int_div_zero 0
	.end_amdhsa_kernel
	.text
.Lfunc_end0:
	.size	fft_rtc_back_len500_factors_10_5_10_wgs_100_tpt_100_halfLds_dp_op_CI_CI_sbrr_dirReg, .Lfunc_end0-fft_rtc_back_len500_factors_10_5_10_wgs_100_tpt_100_halfLds_dp_op_CI_CI_sbrr_dirReg
                                        ; -- End function
	.section	.AMDGPU.csdata,"",@progbits
; Kernel info:
; codeLenInByte = 6672
; NumSgprs: 36
; NumVgprs: 100
; ScratchSize: 0
; MemoryBound: 1
; FloatMode: 240
; IeeeMode: 1
; LDSByteSize: 0 bytes/workgroup (compile time only)
; SGPRBlocks: 4
; VGPRBlocks: 24
; NumSGPRsForWavesPerEU: 36
; NumVGPRsForWavesPerEU: 100
; Occupancy: 2
; WaveLimiterHint : 1
; COMPUTE_PGM_RSRC2:SCRATCH_EN: 0
; COMPUTE_PGM_RSRC2:USER_SGPR: 6
; COMPUTE_PGM_RSRC2:TRAP_HANDLER: 0
; COMPUTE_PGM_RSRC2:TGID_X_EN: 1
; COMPUTE_PGM_RSRC2:TGID_Y_EN: 0
; COMPUTE_PGM_RSRC2:TGID_Z_EN: 0
; COMPUTE_PGM_RSRC2:TIDIG_COMP_CNT: 0
	.type	__hip_cuid_f9e3957842d7b612,@object ; @__hip_cuid_f9e3957842d7b612
	.section	.bss,"aw",@nobits
	.globl	__hip_cuid_f9e3957842d7b612
__hip_cuid_f9e3957842d7b612:
	.byte	0                               ; 0x0
	.size	__hip_cuid_f9e3957842d7b612, 1

	.ident	"AMD clang version 19.0.0git (https://github.com/RadeonOpenCompute/llvm-project roc-6.4.0 25133 c7fe45cf4b819c5991fe208aaa96edf142730f1d)"
	.section	".note.GNU-stack","",@progbits
	.addrsig
	.addrsig_sym __hip_cuid_f9e3957842d7b612
	.amdgpu_metadata
---
amdhsa.kernels:
  - .args:
      - .actual_access:  read_only
        .address_space:  global
        .offset:         0
        .size:           8
        .value_kind:     global_buffer
      - .offset:         8
        .size:           8
        .value_kind:     by_value
      - .actual_access:  read_only
        .address_space:  global
        .offset:         16
        .size:           8
        .value_kind:     global_buffer
      - .actual_access:  read_only
        .address_space:  global
        .offset:         24
        .size:           8
        .value_kind:     global_buffer
      - .actual_access:  read_only
        .address_space:  global
        .offset:         32
        .size:           8
        .value_kind:     global_buffer
      - .offset:         40
        .size:           8
        .value_kind:     by_value
      - .actual_access:  read_only
        .address_space:  global
        .offset:         48
        .size:           8
        .value_kind:     global_buffer
      - .actual_access:  read_only
        .address_space:  global
        .offset:         56
        .size:           8
        .value_kind:     global_buffer
      - .offset:         64
        .size:           4
        .value_kind:     by_value
      - .actual_access:  read_only
        .address_space:  global
        .offset:         72
        .size:           8
        .value_kind:     global_buffer
      - .actual_access:  read_only
        .address_space:  global
        .offset:         80
        .size:           8
        .value_kind:     global_buffer
      - .actual_access:  read_only
        .address_space:  global
        .offset:         88
        .size:           8
        .value_kind:     global_buffer
      - .actual_access:  write_only
        .address_space:  global
        .offset:         96
        .size:           8
        .value_kind:     global_buffer
    .group_segment_fixed_size: 0
    .kernarg_segment_align: 8
    .kernarg_segment_size: 104
    .language:       OpenCL C
    .language_version:
      - 2
      - 0
    .max_flat_workgroup_size: 100
    .name:           fft_rtc_back_len500_factors_10_5_10_wgs_100_tpt_100_halfLds_dp_op_CI_CI_sbrr_dirReg
    .private_segment_fixed_size: 0
    .sgpr_count:     36
    .sgpr_spill_count: 0
    .symbol:         fft_rtc_back_len500_factors_10_5_10_wgs_100_tpt_100_halfLds_dp_op_CI_CI_sbrr_dirReg.kd
    .uniform_work_group_size: 1
    .uses_dynamic_stack: false
    .vgpr_count:     100
    .vgpr_spill_count: 0
    .wavefront_size: 64
amdhsa.target:   amdgcn-amd-amdhsa--gfx906
amdhsa.version:
  - 1
  - 2
...

	.end_amdgpu_metadata
